;; amdgpu-corpus repo=ROCm/rocFFT kind=compiled arch=gfx906 opt=O3
	.text
	.amdgcn_target "amdgcn-amd-amdhsa--gfx906"
	.amdhsa_code_object_version 6
	.protected	fft_rtc_back_len858_factors_13_11_6_wgs_234_tpt_78_halfLds_half_ip_CI_sbrr_dirReg ; -- Begin function fft_rtc_back_len858_factors_13_11_6_wgs_234_tpt_78_halfLds_half_ip_CI_sbrr_dirReg
	.globl	fft_rtc_back_len858_factors_13_11_6_wgs_234_tpt_78_halfLds_half_ip_CI_sbrr_dirReg
	.p2align	8
	.type	fft_rtc_back_len858_factors_13_11_6_wgs_234_tpt_78_halfLds_half_ip_CI_sbrr_dirReg,@function
fft_rtc_back_len858_factors_13_11_6_wgs_234_tpt_78_halfLds_half_ip_CI_sbrr_dirReg: ; @fft_rtc_back_len858_factors_13_11_6_wgs_234_tpt_78_halfLds_half_ip_CI_sbrr_dirReg
; %bb.0:
	s_load_dwordx2 s[2:3], s[4:5], 0x18
	s_load_dwordx4 s[8:11], s[4:5], 0x0
	s_load_dwordx2 s[14:15], s[4:5], 0x50
	v_mul_u32_u24_e32 v1, 0x349, v0
	v_lshrrev_b32_e32 v1, 16, v1
	s_waitcnt lgkmcnt(0)
	s_load_dwordx2 s[12:13], s[2:3], 0x0
	v_mad_u64_u32 v[2:3], s[0:1], s6, 3, v[1:2]
	v_mov_b32_e32 v6, 0
	v_cmp_lt_u64_e64 s[0:1], s[10:11], 2
	v_mov_b32_e32 v3, v6
	v_mov_b32_e32 v4, 0
	;; [unrolled: 1-line block ×3, first 2 shown]
	s_and_b64 vcc, exec, s[0:1]
	v_mov_b32_e32 v5, 0
	v_mov_b32_e32 v10, v2
	s_cbranch_vccnz .LBB0_8
; %bb.1:
	s_load_dwordx2 s[0:1], s[4:5], 0x10
	s_add_u32 s6, s2, 8
	s_addc_u32 s7, s3, 0
	v_mov_b32_e32 v4, 0
	v_mov_b32_e32 v9, v3
	s_waitcnt lgkmcnt(0)
	s_add_u32 s18, s0, 8
	s_mov_b64 s[16:17], 1
	v_mov_b32_e32 v5, 0
	s_addc_u32 s19, s1, 0
	v_mov_b32_e32 v8, v2
.LBB0_2:                                ; =>This Inner Loop Header: Depth=1
	s_load_dwordx2 s[20:21], s[18:19], 0x0
                                        ; implicit-def: $vgpr10_vgpr11
	s_waitcnt lgkmcnt(0)
	v_or_b32_e32 v7, s21, v9
	v_cmp_ne_u64_e32 vcc, 0, v[6:7]
	s_and_saveexec_b64 s[0:1], vcc
	s_xor_b64 s[22:23], exec, s[0:1]
	s_cbranch_execz .LBB0_4
; %bb.3:                                ;   in Loop: Header=BB0_2 Depth=1
	v_cvt_f32_u32_e32 v1, s20
	v_cvt_f32_u32_e32 v3, s21
	s_sub_u32 s0, 0, s20
	s_subb_u32 s1, 0, s21
	v_mac_f32_e32 v1, 0x4f800000, v3
	v_rcp_f32_e32 v1, v1
	v_mul_f32_e32 v1, 0x5f7ffffc, v1
	v_mul_f32_e32 v3, 0x2f800000, v1
	v_trunc_f32_e32 v3, v3
	v_mac_f32_e32 v1, 0xcf800000, v3
	v_cvt_u32_f32_e32 v3, v3
	v_cvt_u32_f32_e32 v1, v1
	v_mul_lo_u32 v7, s0, v3
	v_mul_hi_u32 v10, s0, v1
	v_mul_lo_u32 v12, s1, v1
	v_mul_lo_u32 v11, s0, v1
	v_add_u32_e32 v7, v10, v7
	v_add_u32_e32 v7, v7, v12
	v_mul_hi_u32 v10, v1, v11
	v_mul_lo_u32 v12, v1, v7
	v_mul_hi_u32 v14, v1, v7
	v_mul_hi_u32 v13, v3, v11
	v_mul_lo_u32 v11, v3, v11
	v_mul_hi_u32 v15, v3, v7
	v_add_co_u32_e32 v10, vcc, v10, v12
	v_addc_co_u32_e32 v12, vcc, 0, v14, vcc
	v_mul_lo_u32 v7, v3, v7
	v_add_co_u32_e32 v10, vcc, v10, v11
	v_addc_co_u32_e32 v10, vcc, v12, v13, vcc
	v_addc_co_u32_e32 v11, vcc, 0, v15, vcc
	v_add_co_u32_e32 v7, vcc, v10, v7
	v_addc_co_u32_e32 v10, vcc, 0, v11, vcc
	v_add_co_u32_e32 v1, vcc, v1, v7
	v_addc_co_u32_e32 v3, vcc, v3, v10, vcc
	v_mul_lo_u32 v7, s0, v3
	v_mul_hi_u32 v10, s0, v1
	v_mul_lo_u32 v11, s1, v1
	v_mul_lo_u32 v12, s0, v1
	v_add_u32_e32 v7, v10, v7
	v_add_u32_e32 v7, v7, v11
	v_mul_lo_u32 v13, v1, v7
	v_mul_hi_u32 v14, v1, v12
	v_mul_hi_u32 v15, v1, v7
	;; [unrolled: 1-line block ×3, first 2 shown]
	v_mul_lo_u32 v12, v3, v12
	v_mul_hi_u32 v10, v3, v7
	v_add_co_u32_e32 v13, vcc, v14, v13
	v_addc_co_u32_e32 v14, vcc, 0, v15, vcc
	v_mul_lo_u32 v7, v3, v7
	v_add_co_u32_e32 v12, vcc, v13, v12
	v_addc_co_u32_e32 v11, vcc, v14, v11, vcc
	v_addc_co_u32_e32 v10, vcc, 0, v10, vcc
	v_add_co_u32_e32 v7, vcc, v11, v7
	v_addc_co_u32_e32 v10, vcc, 0, v10, vcc
	v_add_co_u32_e32 v1, vcc, v1, v7
	v_addc_co_u32_e32 v3, vcc, v3, v10, vcc
	v_mad_u64_u32 v[10:11], s[0:1], v8, v3, 0
	v_mul_hi_u32 v7, v8, v1
	v_mad_u64_u32 v[12:13], s[0:1], v9, v3, 0
	v_add_co_u32_e32 v7, vcc, v7, v10
	v_addc_co_u32_e32 v14, vcc, 0, v11, vcc
	v_mad_u64_u32 v[10:11], s[0:1], v9, v1, 0
	v_add_co_u32_e32 v1, vcc, v7, v10
	v_addc_co_u32_e32 v1, vcc, v14, v11, vcc
	v_addc_co_u32_e32 v3, vcc, 0, v13, vcc
	v_add_co_u32_e32 v1, vcc, v1, v12
	v_addc_co_u32_e32 v3, vcc, 0, v3, vcc
	v_mul_lo_u32 v7, s21, v1
	v_mul_lo_u32 v12, s20, v3
	v_mad_u64_u32 v[10:11], s[0:1], s20, v1, 0
	v_add3_u32 v7, v11, v12, v7
	v_sub_u32_e32 v11, v9, v7
	v_mov_b32_e32 v12, s21
	v_sub_co_u32_e32 v10, vcc, v8, v10
	v_subb_co_u32_e64 v11, s[0:1], v11, v12, vcc
	v_subrev_co_u32_e64 v12, s[0:1], s20, v10
	v_subbrev_co_u32_e64 v11, s[0:1], 0, v11, s[0:1]
	v_cmp_le_u32_e64 s[0:1], s21, v11
	v_cndmask_b32_e64 v13, 0, -1, s[0:1]
	v_cmp_le_u32_e64 s[0:1], s20, v12
	v_cndmask_b32_e64 v12, 0, -1, s[0:1]
	v_cmp_eq_u32_e64 s[0:1], s21, v11
	v_cndmask_b32_e64 v11, v13, v12, s[0:1]
	v_add_co_u32_e64 v12, s[0:1], 2, v1
	v_addc_co_u32_e64 v13, s[0:1], 0, v3, s[0:1]
	v_add_co_u32_e64 v14, s[0:1], 1, v1
	v_addc_co_u32_e64 v15, s[0:1], 0, v3, s[0:1]
	v_subb_co_u32_e32 v7, vcc, v9, v7, vcc
	v_cmp_ne_u32_e64 s[0:1], 0, v11
	v_cmp_le_u32_e32 vcc, s21, v7
	v_cndmask_b32_e64 v11, v15, v13, s[0:1]
	v_cndmask_b32_e64 v13, 0, -1, vcc
	v_cmp_le_u32_e32 vcc, s20, v10
	v_cndmask_b32_e64 v10, 0, -1, vcc
	v_cmp_eq_u32_e32 vcc, s21, v7
	v_cndmask_b32_e32 v7, v13, v10, vcc
	v_cmp_ne_u32_e32 vcc, 0, v7
	v_cndmask_b32_e32 v11, v3, v11, vcc
	v_cndmask_b32_e64 v3, v14, v12, s[0:1]
	v_cndmask_b32_e32 v10, v1, v3, vcc
.LBB0_4:                                ;   in Loop: Header=BB0_2 Depth=1
	s_andn2_saveexec_b64 s[0:1], s[22:23]
	s_cbranch_execz .LBB0_6
; %bb.5:                                ;   in Loop: Header=BB0_2 Depth=1
	v_cvt_f32_u32_e32 v1, s20
	s_sub_i32 s22, 0, s20
	v_mov_b32_e32 v11, v6
	v_rcp_iflag_f32_e32 v1, v1
	v_mul_f32_e32 v1, 0x4f7ffffe, v1
	v_cvt_u32_f32_e32 v1, v1
	v_mul_lo_u32 v3, s22, v1
	v_mul_hi_u32 v3, v1, v3
	v_add_u32_e32 v1, v1, v3
	v_mul_hi_u32 v1, v8, v1
	v_mul_lo_u32 v3, v1, s20
	v_add_u32_e32 v7, 1, v1
	v_sub_u32_e32 v3, v8, v3
	v_subrev_u32_e32 v10, s20, v3
	v_cmp_le_u32_e32 vcc, s20, v3
	v_cndmask_b32_e32 v3, v3, v10, vcc
	v_cndmask_b32_e32 v1, v1, v7, vcc
	v_add_u32_e32 v7, 1, v1
	v_cmp_le_u32_e32 vcc, s20, v3
	v_cndmask_b32_e32 v10, v1, v7, vcc
.LBB0_6:                                ;   in Loop: Header=BB0_2 Depth=1
	s_or_b64 exec, exec, s[0:1]
	v_mul_lo_u32 v1, v11, s20
	v_mul_lo_u32 v3, v10, s21
	v_mad_u64_u32 v[12:13], s[0:1], v10, s20, 0
	s_load_dwordx2 s[0:1], s[6:7], 0x0
	s_add_u32 s16, s16, 1
	v_add3_u32 v1, v13, v3, v1
	v_sub_co_u32_e32 v3, vcc, v8, v12
	v_subb_co_u32_e32 v1, vcc, v9, v1, vcc
	s_waitcnt lgkmcnt(0)
	v_mul_lo_u32 v1, s0, v1
	v_mul_lo_u32 v7, s1, v3
	v_mad_u64_u32 v[4:5], s[0:1], s0, v3, v[4:5]
	s_addc_u32 s17, s17, 0
	s_add_u32 s6, s6, 8
	v_add3_u32 v5, v7, v5, v1
	v_mov_b32_e32 v7, s10
	v_mov_b32_e32 v8, s11
	s_addc_u32 s7, s7, 0
	v_cmp_ge_u64_e32 vcc, s[16:17], v[7:8]
	s_add_u32 s18, s18, 8
	s_addc_u32 s19, s19, 0
	s_cbranch_vccnz .LBB0_8
; %bb.7:                                ;   in Loop: Header=BB0_2 Depth=1
	v_mov_b32_e32 v8, v10
	v_mov_b32_e32 v9, v11
	s_branch .LBB0_2
.LBB0_8:
	s_lshl_b64 s[0:1], s[10:11], 3
	s_add_u32 s0, s2, s0
	s_addc_u32 s1, s3, s1
	s_load_dwordx2 s[2:3], s[0:1], 0x0
	s_load_dwordx2 s[6:7], s[4:5], 0x20
	v_mov_b32_e32 v18, 0
                                        ; implicit-def: $vgpr13
                                        ; implicit-def: $vgpr14
                                        ; implicit-def: $vgpr8
                                        ; implicit-def: $vgpr15
                                        ; implicit-def: $vgpr9
                                        ; implicit-def: $vgpr16
                                        ; implicit-def: $vgpr17
                                        ; implicit-def: $vgpr12
                                        ; implicit-def: $vgpr19
                                        ; implicit-def: $vgpr30
                                        ; implicit-def: $vgpr21
                                        ; implicit-def: $vgpr29
                                        ; implicit-def: $vgpr22
                                        ; implicit-def: $vgpr28
                                        ; implicit-def: $vgpr23
                                        ; implicit-def: $vgpr27
                                        ; implicit-def: $vgpr24
                                        ; implicit-def: $vgpr26
                                        ; implicit-def: $vgpr25
                                        ; implicit-def: $vgpr20
	s_waitcnt lgkmcnt(0)
	v_mad_u64_u32 v[6:7], s[0:1], s2, v10, v[4:5]
	s_mov_b32 s0, 0x3483484
	v_mul_lo_u32 v1, s2, v11
	v_mul_lo_u32 v3, s3, v10
	v_mul_hi_u32 v4, v0, s0
	v_cmp_gt_u64_e32 vcc, s[6:7], v[10:11]
	s_movk_i32 s0, 0x42
	v_add3_u32 v7, v3, v7, v1
	v_mul_u32_u24_e32 v1, 0x4e, v4
	v_sub_u32_e32 v3, v0, v1
	v_cmp_gt_u32_e64 s[0:1], s0, v3
	v_lshlrev_b64 v[0:1], 2, v[6:7]
	s_and_b64 s[2:3], vcc, s[0:1]
	v_mov_b32_e32 v5, 0
                                        ; implicit-def: $vgpr11
                                        ; implicit-def: $vgpr6
                                        ; implicit-def: $vgpr7
                                        ; implicit-def: $vgpr10
	s_and_saveexec_b64 s[4:5], s[2:3]
	s_cbranch_execz .LBB0_10
; %bb.9:
	v_mad_u64_u32 v[4:5], s[2:3], s12, v3, 0
	v_add_u32_e32 v9, 0x42, v3
	v_mov_b32_e32 v8, s15
	v_mad_u64_u32 v[5:6], s[2:3], s13, v3, v[5:6]
	v_mad_u64_u32 v[6:7], s[2:3], s12, v9, 0
	v_add_co_u32_e64 v19, s[2:3], s14, v0
	v_addc_co_u32_e64 v35, s[2:3], v8, v1, s[2:3]
	v_mad_u64_u32 v[7:8], s[2:3], s13, v9, v[7:8]
	v_add_u32_e32 v10, 0x84, v3
	v_mad_u64_u32 v[8:9], s[2:3], s12, v10, 0
	v_lshlrev_b64 v[4:5], 2, v[4:5]
	v_add_u32_e32 v12, 0xc6, v3
	v_add_co_u32_e64 v4, s[2:3], v19, v4
	v_addc_co_u32_e64 v5, s[2:3], v35, v5, s[2:3]
	v_mad_u64_u32 v[9:10], s[2:3], s13, v10, v[9:10]
	v_mad_u64_u32 v[10:11], s[2:3], s12, v12, 0
	v_lshlrev_b64 v[6:7], 2, v[6:7]
	v_add_u32_e32 v17, 0x18c, v3
	v_add_co_u32_e64 v13, s[2:3], v19, v6
	v_addc_co_u32_e64 v14, s[2:3], v35, v7, s[2:3]
	v_lshlrev_b64 v[6:7], 2, v[8:9]
	v_mov_b32_e32 v8, v11
	v_mad_u64_u32 v[8:9], s[2:3], s13, v12, v[8:9]
	v_add_u32_e32 v9, 0x108, v3
	v_mad_u64_u32 v[15:16], s[2:3], s12, v9, 0
	v_add_co_u32_e64 v21, s[2:3], v19, v6
	v_mov_b32_e32 v11, v8
	v_mov_b32_e32 v8, v16
	v_addc_co_u32_e64 v22, s[2:3], v35, v7, s[2:3]
	v_lshlrev_b64 v[6:7], 2, v[10:11]
	v_mad_u64_u32 v[8:9], s[2:3], s13, v9, v[8:9]
	v_add_u32_e32 v11, 0x14a, v3
	v_mad_u64_u32 v[9:10], s[2:3], s12, v11, 0
	v_add_co_u32_e64 v23, s[2:3], v19, v6
	v_mov_b32_e32 v16, v8
	v_mov_b32_e32 v8, v10
	v_addc_co_u32_e64 v24, s[2:3], v35, v7, s[2:3]
	v_mad_u64_u32 v[10:11], s[2:3], s13, v11, v[8:9]
	v_mad_u64_u32 v[11:12], s[2:3], s12, v17, 0
	v_lshlrev_b64 v[6:7], 2, v[15:16]
	v_add_co_u32_e64 v15, s[2:3], v19, v6
	v_mov_b32_e32 v8, v12
	v_addc_co_u32_e64 v16, s[2:3], v35, v7, s[2:3]
	v_lshlrev_b64 v[6:7], 2, v[9:10]
	v_mad_u64_u32 v[8:9], s[2:3], s13, v17, v[8:9]
	v_add_u32_e32 v17, 0x1ce, v3
	v_mad_u64_u32 v[9:10], s[2:3], s12, v17, 0
	v_add_co_u32_e64 v25, s[2:3], v19, v6
	v_mov_b32_e32 v12, v8
	v_addc_co_u32_e64 v26, s[2:3], v35, v7, s[2:3]
	v_lshlrev_b64 v[6:7], 2, v[11:12]
	v_mov_b32_e32 v8, v10
	v_mad_u64_u32 v[10:11], s[2:3], s13, v17, v[8:9]
	v_add_co_u32_e64 v27, s[2:3], v19, v6
	v_add_u32_e32 v8, 0x210, v3
	v_addc_co_u32_e64 v28, s[2:3], v35, v7, s[2:3]
	v_mad_u64_u32 v[29:30], s[2:3], s12, v8, 0
	v_lshlrev_b64 v[6:7], 2, v[9:10]
	v_add_u32_e32 v17, 0x252, v3
	v_add_co_u32_e64 v31, s[2:3], v19, v6
	v_mov_b32_e32 v6, v30
	v_addc_co_u32_e64 v32, s[2:3], v35, v7, s[2:3]
	v_mad_u64_u32 v[11:12], s[2:3], s13, v8, v[6:7]
	global_load_dword v18, v[4:5], off
	global_load_dword v6, v[13:14], off
	;; [unrolled: 1-line block ×8, first 2 shown]
	v_mad_u64_u32 v[33:34], s[2:3], s12, v17, 0
	v_mov_b32_e32 v30, v11
	v_add_u32_e32 v21, 0x294, v3
	v_mov_b32_e32 v11, v34
	v_lshlrev_b64 v[4:5], 2, v[29:30]
	v_add_u32_e32 v24, 0x2d6, v3
	s_waitcnt vmcnt(1)
	v_mad_u64_u32 v[13:14], s[2:3], s13, v17, v[11:12]
	v_mad_u64_u32 v[14:15], s[2:3], s12, v21, 0
	v_add_co_u32_e64 v4, s[2:3], v19, v4
	v_mov_b32_e32 v11, v15
	v_addc_co_u32_e64 v5, s[2:3], v35, v5, s[2:3]
	v_mad_u64_u32 v[21:22], s[2:3], s13, v21, v[11:12]
	v_mad_u64_u32 v[22:23], s[2:3], s12, v24, 0
	v_mov_b32_e32 v34, v13
	v_lshlrev_b64 v[16:17], 2, v[33:34]
	v_mov_b32_e32 v15, v21
	v_add_co_u32_e64 v16, s[2:3], v19, v16
	v_mov_b32_e32 v11, v23
	v_addc_co_u32_e64 v17, s[2:3], v35, v17, s[2:3]
	v_lshlrev_b64 v[13:14], 2, v[14:15]
	v_mad_u64_u32 v[23:24], s[2:3], s13, v24, v[11:12]
	v_add_u32_e32 v15, 0x318, v3
	v_mad_u64_u32 v[24:25], s[2:3], s12, v15, 0
	v_add_co_u32_e64 v13, s[2:3], v19, v13
	v_mov_b32_e32 v11, v25
	v_addc_co_u32_e64 v14, s[2:3], v35, v14, s[2:3]
	v_mad_u64_u32 v[25:26], s[2:3], s13, v15, v[11:12]
	v_lshlrev_b64 v[21:22], 2, v[22:23]
	v_lshrrev_b32_e32 v11, 16, v6
	v_add_co_u32_e64 v21, s[2:3], v19, v21
	v_lshlrev_b64 v[23:24], 2, v[24:25]
	v_addc_co_u32_e64 v22, s[2:3], v35, v22, s[2:3]
	v_add_co_u32_e64 v23, s[2:3], v19, v23
	v_addc_co_u32_e64 v24, s[2:3], v35, v24, s[2:3]
	global_load_dword v26, v[4:5], off
	global_load_dword v27, v[16:17], off
	;; [unrolled: 1-line block ×5, first 2 shown]
	v_lshrrev_b32_e32 v5, 16, v18
	v_lshrrev_b32_e32 v13, 16, v7
	;; [unrolled: 1-line block ×6, first 2 shown]
	s_waitcnt vmcnt(5)
	v_lshrrev_b32_e32 v25, 16, v20
	s_waitcnt vmcnt(4)
	v_lshrrev_b32_e32 v24, 16, v26
	;; [unrolled: 2-line block ×6, first 2 shown]
.LBB0_10:
	s_or_b64 exec, exec, s[4:5]
	s_mov_b32 s2, 0xaaaaaaab
	v_mul_hi_u32 v4, v2, s2
	v_sub_f16_e32 v40, v11, v19
	v_add_f16_e32 v31, v6, v30
	s_movk_i32 s4, 0x388b
	v_lshrrev_b32_e32 v4, 1, v4
	v_lshl_add_u32 v4, v4, 1, v4
	v_mul_f16_e32 v44, 0xba95, v40
	v_sub_f16_e32 v43, v13, v21
	v_sub_u32_e32 v4, v2, v4
	v_fma_f16 v2, v31, s4, -v44
	s_mov_b32 s5, 0xb5ac
	v_add_f16_e32 v32, v7, v29
	v_mul_f16_e32 v38, 0xbb7b, v43
	v_add_f16_e32 v2, v18, v2
	v_fma_f16 v33, v32, s5, -v38
	v_sub_f16_e32 v45, v14, v22
	v_add_f16_e32 v2, v2, v33
	s_mov_b32 s6, 0xbbc4
	v_add_f16_e32 v33, v8, v28
	v_mul_f16_e32 v37, 0xb3a8, v45
	v_fma_f16 v34, v33, s6, -v37
	v_sub_f16_e32 v46, v15, v23
	v_add_f16_e32 v2, v2, v34
	s_mov_b32 s7, 0xb9fd
	v_add_f16_e32 v34, v9, v27
	v_mul_f16_e32 v39, 0x394e, v46
	v_fma_f16 v35, v34, s7, -v39
	v_sub_f16_e32 v47, v16, v24
	v_add_f16_e32 v2, v2, v35
	s_movk_i32 s10, 0x2fb7
	v_add_f16_e32 v35, v10, v26
	v_mul_f16_e32 v41, 0x3bf1, v47
	v_fma_f16 v36, v35, s10, -v41
	v_sub_f16_e32 v48, v17, v25
	v_add_f16_e32 v2, v2, v36
	s_movk_i32 s11, 0x3b15
	v_add_f16_e32 v36, v12, v20
	v_mul_f16_e32 v42, 0x3770, v48
	v_fma_f16 v49, v36, s11, -v42
	v_mul_u32_u24_e32 v4, 0x35a, v4
	v_add_f16_e32 v2, v2, v49
	v_lshlrev_b32_e32 v4, 1, v4
	s_and_saveexec_b64 s[2:3], s[0:1]
	s_cbranch_execz .LBB0_12
; %bb.11:
	v_mul_f16_e32 v59, 0xb770, v40
	v_fma_f16 v60, v31, s11, -v59
	v_mul_f16_e32 v61, 0xba95, v43
	v_add_f16_e32 v60, v18, v60
	v_fma_f16 v62, v32, s4, -v61
	v_add_f16_e32 v60, v60, v62
	v_mul_f16_e32 v62, 0xbbf1, v45
	v_fma_f16 v63, v33, s10, -v62
	v_add_f16_e32 v60, v60, v63
	v_mul_f16_e32 v63, 0xbb7b, v46
	;; [unrolled: 3-line block ×4, first 2 shown]
	v_fma_f16 v66, v36, s6, -v65
	s_mov_b32 s6, 0x5040100
	v_mul_f16_e32 v49, 0x388b, v31
	v_perm_b32 v44, v44, v59, s6
	v_mul_f16_e32 v59, 0x3b15, v31
	s_mov_b32 s17, 0xb3a8b94e
	v_add_f16_e32 v60, v60, v66
	v_add_f16_e32 v66, v18, v6
	v_perm_b32 v49, v49, v59, s6
	s_mov_b32 s7, 0xbb7bbbf1
	v_mul_f16_e32 v50, 0xb5ac, v32
	v_pk_mul_f16 v55, v40, s17 op_sel_hi:[0,1]
	v_add_f16_e32 v66, v66, v7
	v_pk_mul_f16 v68, v40, s7 op_sel_hi:[0,1]
	v_pk_add_f16 v40, v44, v49
	v_mul_f16_e32 v44, 0x388b, v32
	v_mul_f16_e32 v51, 0xbbc4, v33
	v_add_f16_e32 v66, v66, v8
	v_perm_b32 v38, v38, v61, s6
	v_mul_f16_e32 v49, 0x2fb7, v33
	v_perm_b32 v44, v50, v44, s6
	v_add_f16_e32 v66, v66, v9
	v_pk_add_f16 v38, v38, v44
	v_pk_add_f16 v40, v18, v40 op_sel_hi:[0,1]
	v_perm_b32 v37, v37, v62, s6
	v_perm_b32 v49, v51, v49, s6
	v_mul_f16_e32 v52, 0xb9fd, v34
	v_add_f16_e32 v66, v66, v10
	v_mul_f16_e32 v50, 0xb5ac, v34
	v_pk_add_f16 v38, v40, v38
	v_pk_add_f16 v37, v37, v49
	v_add_f16_e32 v66, v66, v12
	v_pk_add_f16 v37, v38, v37
	v_perm_b32 v38, v39, v63, s6
	v_perm_b32 v39, v52, v50, s6
	v_mul_f16_e32 v53, 0x2fb7, v35
	v_add_f16_e32 v66, v66, v20
	v_mul_f16_e32 v44, 0xb9fd, v35
	v_pk_add_f16 v38, v38, v39
	v_add_f16_e32 v66, v26, v66
	v_pk_add_f16 v37, v37, v38
	v_perm_b32 v38, v41, v64, s6
	v_perm_b32 v39, v53, v44, s6
	v_mul_f16_e32 v54, 0x3b15, v36
	v_add_f16_e32 v66, v27, v66
	v_mul_f16_e32 v40, 0xbbc4, v36
	v_pk_add_f16 v38, v38, v39
	v_add_f16_e32 v66, v28, v66
	s_mov_b32 s5, 0x3bf1bb7b
	v_pk_add_f16 v37, v37, v38
	v_perm_b32 v38, v42, v65, s6
	v_perm_b32 v39, v54, v40, s6
	s_mov_b32 s18, 0x37703bf1
	v_add_f16_e32 v66, v29, v66
	v_mul_u32_u24_e32 v67, 26, v3
	v_pk_mul_f16 v59, v48, s5 op_sel_hi:[0,1]
	s_mov_b32 s5, 0xb5ac2fb7
	s_mov_b32 s10, 0x394eb3a8
	v_pk_add_f16 v38, v38, v39
	v_pk_mul_f16 v56, v43, s18 op_sel_hi:[0,1]
	s_mov_b32 s19, 0xb94eba95
	s_mov_b32 s21, 0xbb7b3770
	v_add_f16_e32 v66, v30, v66
	v_add3_u32 v67, 0, v67, v4
	s_mov_b32 s7, 0xb9fdbbc4
	v_pk_mul_f16 v43, v43, s10 op_sel_hi:[0,1]
	s_mov_b32 s11, 0x37703b7b
	v_pk_add_f16 v37, v37, v38
	v_pk_fma_f16 v38, v31, s5, v68 op_sel_hi:[0,1,1]
	v_pk_mul_f16 v57, v45, s19 op_sel_hi:[0,1]
	s_mov_b32 s20, 0x3a9533a8
	ds_write_b16 v67, v66
	v_pk_mul_f16 v66, v47, s21 op_sel_hi:[0,1]
	s_mov_b32 s10, 0x3b15b5ac
	v_pk_mul_f16 v45, v45, s11 op_sel_hi:[0,1]
	s_mov_b32 s21, 0xbbf13770
	v_pk_add_f16 v38, v18, v38 op_sel_hi:[0,1]
	v_pk_fma_f16 v39, v32, s7, v43 op_sel_hi:[0,1,1]
	v_pk_mul_f16 v58, v46, s20 op_sel_hi:[0,1]
	s_mov_b32 s11, 0x2fb73b15
	v_pk_mul_f16 v46, v46, s21 op_sel_hi:[0,1]
	s_mov_b32 s22, 0x33a8ba95
	v_pk_add_f16 v38, v38, v39
	v_pk_fma_f16 v39, v33, s10, v45 op_sel_hi:[0,1,1]
	s_mov_b32 s21, 0xbbc4388b
	v_pk_mul_f16 v47, v47, s22 op_sel_hi:[0,1]
	s_mov_b32 s23, 0x3a95b94e
	v_pk_add_f16 v38, v38, v39
	v_pk_fma_f16 v39, v34, s11, v46 op_sel_hi:[0,1,1]
	s_mov_b32 s22, 0x388bb9fd
	v_pk_mul_f16 v48, v48, s23 op_sel_hi:[0,1]
	v_pk_add_f16 v38, v38, v39
	v_pk_fma_f16 v39, v35, s21, v47 op_sel_hi:[0,1,1]
	s_mov_b32 s16, 0xbbc4b9fd
	v_pk_add_f16 v38, v38, v39
	v_pk_fma_f16 v39, v36, s22, v48 op_sel_hi:[0,1,1]
	s_mov_b32 s17, 0x3b152fb7
	;; [unrolled: 3-line block ×3, first 2 shown]
	v_pk_add_f16 v39, v18, v39 op_sel_hi:[0,1]
	v_pk_fma_f16 v40, v32, s17, v56 op_sel_hi:[0,1,1]
	s_mov_b32 s19, 0x388bbbc4
	v_pk_add_f16 v39, v39, v40
	v_pk_fma_f16 v40, v33, s18, v57 op_sel_hi:[0,1,1]
	s_mov_b32 s20, 0xb5ac3b15
	v_pk_add_f16 v39, v39, v40
	;; [unrolled: 3-line block ×3, first 2 shown]
	v_pk_fma_f16 v40, v35, s20, v66 op_sel_hi:[0,1,1]
	v_pk_add_f16 v39, v39, v40
	v_pk_fma_f16 v40, v36, s4, v59 op_sel_hi:[0,1,1]
	v_pk_add_f16 v39, v39, v40
	v_pk_fma_f16 v40, v31, s16, v55 op_sel_hi:[0,1,1] neg_lo:[0,0,1] neg_hi:[0,0,1]
	v_pk_fma_f16 v31, v31, s5, v68 op_sel_hi:[0,1,1] neg_lo:[0,0,1] neg_hi:[0,0,1]
	v_pk_add_f16 v40, v18, v40 op_sel_hi:[0,1]
	v_pk_fma_f16 v41, v32, s17, v56 op_sel_hi:[0,1,1] neg_lo:[0,0,1] neg_hi:[0,0,1]
	v_pk_add_f16 v18, v18, v31 op_sel_hi:[0,1]
	v_pk_fma_f16 v31, v32, s7, v43 op_sel_hi:[0,1,1] neg_lo:[0,0,1] neg_hi:[0,0,1]
	v_pk_add_f16 v40, v40, v41
	v_pk_fma_f16 v41, v33, s18, v57 op_sel_hi:[0,1,1] neg_lo:[0,0,1] neg_hi:[0,0,1]
	v_pk_add_f16 v18, v18, v31
	;; [unrolled: 2-line block ×9, first 2 shown]
	v_pk_add_f16 v18, v18, v31
	v_alignbit_b32 v40, v40, v40, 16
	v_alignbit_b32 v31, v18, v18, 16
	v_perm_b32 v32, v60, v2, s6
	ds_write_b128 v67, v[37:40] offset:2
	ds_write_b64 v67, v[31:32] offset:18
.LBB0_12:
	s_or_b64 exec, exec, s[2:3]
	v_sub_f16_e32 v50, v6, v30
	s_mov_b32 s2, 0xba95b770
	v_add_f16_e32 v49, v11, v19
	v_sub_f16_e32 v48, v7, v29
	s_mov_b32 s11, 0x388b3b15
	v_pk_mul_f16 v33, v50, s2 op_sel_hi:[0,1]
	s_mov_b32 s2, 0xbb7bba95
	v_add_f16_e32 v47, v13, v21
	v_sub_f16_e32 v46, v8, v28
	s_mov_b32 s4, 0xb5ac388b
	v_pk_mul_f16 v34, v48, s2 op_sel_hi:[0,1]
	s_mov_b32 s2, 0xb3a8bbf1
	v_pk_fma_f16 v6, v49, s11, v33 op_sel_hi:[0,1,1]
	v_add_f16_e32 v45, v14, v22
	v_sub_f16_e32 v44, v9, v27
	s_mov_b32 s5, 0xbbc42fb7
	v_pk_mul_f16 v35, v46, s2 op_sel_hi:[0,1]
	s_mov_b32 s2, 0x394ebb7b
	v_pk_add_f16 v6, v5, v6 op_sel_hi:[0,1]
	v_pk_fma_f16 v7, v47, s4, v34 op_sel_hi:[0,1,1]
	v_add_f16_e32 v43, v15, v23
	v_sub_f16_e32 v42, v10, v26
	s_mov_b32 s6, 0xb9fdb5ac
	v_pk_mul_f16 v36, v44, s2 op_sel_hi:[0,1]
	s_mov_b32 s2, 0x3bf1b94e
	v_pk_add_f16 v6, v6, v7
	v_pk_fma_f16 v7, v45, s5, v35 op_sel_hi:[0,1,1]
	v_add_f16_e32 v41, v16, v24
	s_mov_b32 s7, 0x2fb7b9fd
	v_pk_mul_f16 v37, v42, s2 op_sel_hi:[0,1]
	v_pk_add_f16 v6, v6, v7
	v_pk_fma_f16 v7, v43, s6, v36 op_sel_hi:[0,1,1]
	v_pk_add_f16 v6, v6, v7
	v_pk_fma_f16 v7, v41, s7, v37 op_sel_hi:[0,1,1]
	v_pk_add_f16 v10, v6, v7
	v_lshlrev_b32_e32 v6, 1, v3
	v_sub_f16_e32 v40, v12, v20
	v_add3_u32 v8, 0, v4, v6
	v_add_u32_e32 v12, 0, v6
	s_waitcnt lgkmcnt(0)
	s_barrier
	v_add_u32_e32 v6, v12, v4
	ds_read_u16 v9, v8
	ds_read_u16 v32, v6 offset:156
	ds_read_u16 v31, v6 offset:312
	ds_read_u16 v30, v6 offset:468
	ds_read_u16 v29, v6 offset:624
	ds_read_u16 v28, v6 offset:780
	ds_read_u16 v27, v6 offset:936
	ds_read_u16 v26, v6 offset:1092
	ds_read_u16 v20, v6 offset:1248
	ds_read_u16 v18, v6 offset:1404
	ds_read_u16 v7, v6 offset:1560
	s_mov_b32 s2, 0x3770b3a8
	v_add_f16_e32 v39, v17, v25
	s_mov_b32 s10, 0x3b15bbc4
	v_pk_mul_f16 v38, v40, s2 op_sel_hi:[0,1]
	v_pk_fma_f16 v51, v39, s10, v38 op_sel_hi:[0,1,1]
	v_pk_add_f16 v10, v10, v51
	s_waitcnt lgkmcnt(0)
	s_barrier
	s_and_saveexec_b64 s[2:3], s[0:1]
	s_cbranch_execz .LBB0_14
; %bb.13:
	v_pack_b32_f16 v51, v49, v49
	v_pk_mul_f16 v49, v49, s11 op_sel_hi:[0,1]
	s_mov_b32 s0, 0x5040100
	v_perm_b32 v52, v5, v5, s0
	v_pack_b32_f16 v53, v47, v47
	v_pk_mul_f16 v47, v47, s4 op_sel_hi:[0,1]
	v_add_f16_e32 v5, v5, v11
	v_pk_add_f16 v11, v49, v33 neg_lo:[0,1] neg_hi:[0,1]
	v_pack_b32_f16 v54, v45, v45
	v_pk_mul_f16 v45, v45, s5 op_sel_hi:[0,1]
	v_add_f16_e32 v5, v5, v13
	v_pk_add_f16 v11, v52, v11
	v_pk_add_f16 v13, v47, v34 neg_lo:[0,1] neg_hi:[0,1]
	v_pack_b32_f16 v55, v43, v43
	v_pk_mul_f16 v43, v43, s6 op_sel_hi:[0,1]
	v_pk_add_f16 v11, v11, v13
	v_pk_add_f16 v13, v45, v35 neg_lo:[0,1] neg_hi:[0,1]
	v_pack_b32_f16 v56, v41, v41
	v_pk_mul_f16 v41, v41, s7 op_sel_hi:[0,1]
	v_add_f16_e32 v5, v5, v14
	v_pk_add_f16 v11, v11, v13
	v_pk_add_f16 v13, v43, v36 neg_lo:[0,1] neg_hi:[0,1]
	v_pack_b32_f16 v57, v39, v39
	v_pk_mul_f16 v39, v39, s10 op_sel_hi:[0,1]
	v_add_f16_e32 v5, v5, v15
	v_pk_add_f16 v11, v11, v13
	v_pk_add_f16 v13, v41, v37 neg_lo:[0,1] neg_hi:[0,1]
	v_pack_b32_f16 v50, v50, v50
	v_add_f16_e32 v5, v5, v16
	v_pk_add_f16 v11, v11, v13
	v_pk_add_f16 v13, v39, v38 neg_lo:[0,1] neg_hi:[0,1]
	s_mov_b32 s1, 0xbb7bbbf1
	v_pack_b32_f16 v48, v48, v48
	v_add_f16_e32 v5, v5, v17
	v_pk_add_f16 v13, v11, v13
	s_mov_b32 s0, 0xb5ac2fb7
	v_pk_mul_f16 v11, v50, s1
	s_mov_b32 s4, 0x394eb3a8
	v_add_f16_e32 v5, v5, v25
	v_pk_fma_f16 v14, v51, s0, v11 neg_lo:[0,0,1] neg_hi:[0,0,1]
	s_mov_b32 s1, 0xb9fdbbc4
	v_pk_mul_f16 v15, v48, s4
	v_pack_b32_f16 v46, v46, v46
	v_add_f16_e32 v5, v24, v5
	v_pk_add_f16 v14, v52, v14
	v_pk_fma_f16 v16, v53, s1, v15 neg_lo:[0,0,1] neg_hi:[0,0,1]
	s_mov_b32 s5, 0x37703b7b
	v_add_f16_e32 v5, v23, v5
	v_pk_add_f16 v14, v14, v16
	s_mov_b32 s4, 0x3b15b5ac
	v_pk_mul_f16 v16, v46, s5
	v_pack_b32_f16 v44, v44, v44
	v_add_f16_e32 v5, v22, v5
	v_pk_fma_f16 v17, v54, s4, v16 neg_lo:[0,0,1] neg_hi:[0,0,1]
	s_mov_b32 s6, 0xbbf13770
	v_add_f16_e32 v5, v21, v5
	v_pk_add_f16 v14, v14, v17
	s_mov_b32 s5, 0x2fb73b15
	v_pk_mul_f16 v17, v44, s6
	v_pk_fma_f16 v11, v51, s0, v11
	v_pack_b32_f16 v42, v42, v42
	v_add_f16_e32 v5, v19, v5
	v_pk_fma_f16 v19, v55, s5, v17 neg_lo:[0,0,1] neg_hi:[0,0,1]
	s_mov_b32 s7, 0x33a8ba95
	v_pk_add_f16 v11, v52, v11
	v_pk_fma_f16 v15, v53, s1, v15
	v_pk_add_f16 v14, v14, v19
	s_mov_b32 s6, 0xbbc4388b
	v_pk_mul_f16 v19, v42, s7
	v_pk_add_f16 v11, v11, v15
	v_pk_fma_f16 v15, v54, s4, v16
	v_pack_b32_f16 v40, v40, v40
	v_pk_fma_f16 v21, v56, s6, v19 neg_lo:[0,0,1] neg_hi:[0,0,1]
	s_mov_b32 s10, 0x3a95b94e
	v_pk_add_f16 v11, v11, v15
	v_pk_fma_f16 v15, v55, s5, v17
	v_pk_add_f16 v14, v14, v21
	s_mov_b32 s7, 0x388bb9fd
	v_pk_mul_f16 v21, v40, s10
	v_pk_add_f16 v11, v11, v15
	v_pk_fma_f16 v15, v56, s6, v19
	s_mov_b32 s1, 0xb3a8b94e
	v_pk_add_f16 v11, v11, v15
	v_pk_fma_f16 v15, v57, s7, v21
	s_mov_b32 s0, 0xbbc4b9fd
	v_pk_mul_f16 v16, v50, s1
	s_mov_b32 s4, 0x37703bf1
	v_pk_add_f16 v11, v11, v15
	v_pk_fma_f16 v15, v51, s0, v16 neg_lo:[0,0,1] neg_hi:[0,0,1]
	s_mov_b32 s1, 0x3b152fb7
	v_pk_mul_f16 v17, v48, s4
	v_pk_add_f16 v15, v52, v15
	v_pk_fma_f16 v19, v53, s1, v17 neg_lo:[0,0,1] neg_hi:[0,0,1]
	s_mov_b32 s5, 0xb94eba95
	v_pk_add_f16 v15, v15, v19
	s_mov_b32 s4, 0xb9fd388b
	v_pk_mul_f16 v19, v46, s5
	v_pk_fma_f16 v22, v57, s7, v21 neg_lo:[0,0,1] neg_hi:[0,0,1]
	v_pk_fma_f16 v21, v54, s4, v19 neg_lo:[0,0,1] neg_hi:[0,0,1]
	s_mov_b32 s6, 0x3a9533a8
	v_pk_add_f16 v15, v15, v21
	s_mov_b32 s5, 0x388bbbc4
	v_pk_mul_f16 v21, v44, s6
	v_pk_fma_f16 v16, v51, s0, v16
	v_pk_add_f16 v14, v14, v22
	v_pk_fma_f16 v22, v55, s5, v21 neg_lo:[0,0,1] neg_hi:[0,0,1]
	s_mov_b32 s7, 0xbb7b3770
	v_pk_add_f16 v16, v52, v16
	v_pk_fma_f16 v17, v53, s1, v17
	v_pk_add_f16 v15, v15, v22
	s_mov_b32 s6, 0xb5ac3b15
	v_pk_mul_f16 v22, v42, s7
	v_pk_add_f16 v16, v16, v17
	v_pk_fma_f16 v17, v54, s4, v19
	v_pk_fma_f16 v23, v56, s6, v22 neg_lo:[0,0,1] neg_hi:[0,0,1]
	s_mov_b32 s10, 0x3bf1bb7b
	v_pk_add_f16 v16, v16, v17
	v_pk_fma_f16 v17, v55, s5, v21
	v_pk_add_f16 v15, v15, v23
	s_mov_b32 s7, 0x2fb7b5ac
	v_pk_mul_f16 v23, v40, s10
	v_pk_add_f16 v16, v16, v17
	v_pk_fma_f16 v17, v56, s6, v22
	v_pk_add_f16 v16, v16, v17
	v_pk_fma_f16 v17, v57, s7, v23
	v_pk_fma_f16 v24, v57, s7, v23 neg_lo:[0,0,1] neg_hi:[0,0,1]
	v_pk_add_f16 v16, v16, v17
	v_mul_u32_u24_e32 v17, 24, v3
	v_pk_add_f16 v15, v15, v24
	v_add3_u32 v17, v12, v17, v4
	v_alignbit_b32 v16, v16, v16, 16
	v_alignbit_b32 v11, v11, v11, 16
	v_alignbit_b32 v12, v10, v10, 16
	ds_write_b16 v17, v5
	ds_write_b128 v17, v[13:16] offset:2
	ds_write_b64 v17, v[11:12] offset:18
.LBB0_14:
	s_or_b64 exec, exec, s[2:3]
	s_movk_i32 s0, 0x4f
	v_mul_lo_u16_sdwa v5, v3, s0 dst_sel:DWORD dst_unused:UNUSED_PAD src0_sel:BYTE_0 src1_sel:DWORD
	v_lshrrev_b16_e32 v17, 10, v5
	v_mul_lo_u16_e32 v5, 13, v17
	v_sub_u16_e32 v19, v3, v5
	v_mov_b32_e32 v5, 10
	v_mul_u32_u24_sdwa v5, v19, v5 dst_sel:DWORD dst_unused:UNUSED_PAD src0_sel:BYTE_0 src1_sel:DWORD
	v_lshlrev_b32_e32 v5, 2, v5
	s_waitcnt lgkmcnt(0)
	s_barrier
	global_load_dwordx4 v[13:16], v5, s[8:9]
	global_load_dwordx4 v[35:38], v5, s[8:9] offset:16
	global_load_dwordx2 v[39:40], v5, s[8:9] offset:32
	ds_read_u16 v12, v8
	ds_read_u16 v5, v6 offset:156
	ds_read_u16 v11, v6 offset:312
	;; [unrolled: 1-line block ×10, first 2 shown]
	s_mov_b32 s0, 0xb93d
	s_mov_b32 s1, 0xb08e
	s_movk_i32 s2, 0x3abb
	s_mov_b32 s7, 0xbbebbb47
	s_mov_b32 s11, 0xb08e36a6
	;; [unrolled: 1-line block ×20, first 2 shown]
	s_waitcnt vmcnt(0) lgkmcnt(0)
	s_barrier
	s_mov_b32 s4, 0xba0c
	s_movk_i32 s5, 0x3beb
	s_mov_b32 s6, 0xb853
	s_mov_b32 s35, 0xb482
	s_movk_i32 s34, 0x3b47
	v_mul_f16_sdwa v22, v5, v13 dst_sel:DWORD dst_unused:UNUSED_PAD src0_sel:DWORD src1_sel:WORD_1
	v_mul_f16_sdwa v24, v32, v13 dst_sel:DWORD dst_unused:UNUSED_PAD src0_sel:DWORD src1_sel:WORD_1
	;; [unrolled: 1-line block ×3, first 2 shown]
	v_fma_f16 v33, v32, v13, v22
	v_mul_f16_sdwa v47, v31, v14 dst_sel:DWORD dst_unused:UNUSED_PAD src0_sel:DWORD src1_sel:WORD_1
	v_mul_f16_sdwa v48, v21, v15 dst_sel:DWORD dst_unused:UNUSED_PAD src0_sel:DWORD src1_sel:WORD_1
	v_fma_f16 v34, v5, v13, -v24
	v_fma_f16 v31, v31, v14, v46
	v_add_f16_e32 v5, v9, v33
	v_mul_f16_sdwa v50, v23, v16 dst_sel:DWORD dst_unused:UNUSED_PAD src0_sel:DWORD src1_sel:WORD_1
	v_fma_f16 v24, v30, v15, v48
	v_add_f16_e32 v5, v5, v31
	v_mul_f16_sdwa v52, v25, v35 dst_sel:DWORD dst_unused:UNUSED_PAD src0_sel:DWORD src1_sel:WORD_1
	v_mul_f16_sdwa v53, v28, v35 dst_sel:DWORD dst_unused:UNUSED_PAD src0_sel:DWORD src1_sel:WORD_1
	;; [unrolled: 1-line block ×5, first 2 shown]
	v_fma_f16 v22, v29, v16, v50
	v_add_f16_e32 v5, v5, v24
	v_mul_f16_sdwa v49, v30, v15 dst_sel:DWORD dst_unused:UNUSED_PAD src0_sel:DWORD src1_sel:WORD_1
	v_mul_f16_sdwa v51, v29, v16 dst_sel:DWORD dst_unused:UNUSED_PAD src0_sel:DWORD src1_sel:WORD_1
	;; [unrolled: 1-line block ×6, first 2 shown]
	v_fma_f16 v32, v11, v14, -v47
	v_fma_f16 v11, v28, v35, v52
	v_fma_f16 v13, v25, v35, -v53
	v_fma_f16 v25, v26, v37, v56
	v_fma_f16 v26, v42, v37, -v57
	v_fma_f16 v37, v45, v40, -v63
	v_add_f16_e32 v5, v5, v22
	v_mul_f16_sdwa v58, v43, v38 dst_sel:DWORD dst_unused:UNUSED_PAD src0_sel:DWORD src1_sel:WORD_1
	v_mul_f16_sdwa v59, v20, v38 dst_sel:DWORD dst_unused:UNUSED_PAD src0_sel:DWORD src1_sel:WORD_1
	;; [unrolled: 1-line block ×3, first 2 shown]
	v_fma_f16 v30, v21, v15, -v49
	v_fma_f16 v23, v23, v16, -v51
	v_fma_f16 v14, v27, v36, v54
	v_fma_f16 v21, v41, v36, -v55
	v_fma_f16 v35, v44, v39, -v61
	v_fma_f16 v36, v7, v40, v62
	v_sub_f16_e32 v16, v34, v37
	v_add_f16_e32 v5, v5, v11
	v_fma_f16 v27, v20, v38, v58
	v_fma_f16 v28, v43, v38, -v59
	v_fma_f16 v29, v18, v39, v60
	v_add_f16_e32 v15, v33, v36
	v_sub_f16_e32 v20, v32, v35
	v_mul_f16_e32 v7, 0xba0c, v16
	v_add_f16_e32 v5, v5, v14
	v_add_f16_e32 v18, v31, v29
	v_sub_f16_e32 v39, v30, v28
	v_mul_f16_e32 v40, 0x3beb, v20
	v_fma_f16 v42, v15, s0, v7
	v_add_f16_e32 v5, v5, v25
	v_add_f16_e32 v38, v24, v27
	v_mul_f16_e32 v41, 0xb853, v39
	v_fma_f16 v7, v15, s0, -v7
	v_fma_f16 v43, v18, s1, v40
	v_add_f16_e32 v42, v9, v42
	v_add_f16_e32 v5, v5, v27
	v_fma_f16 v40, v18, s1, -v40
	v_fma_f16 v44, v38, s2, v41
	v_add_f16_e32 v7, v9, v7
	v_add_f16_e32 v42, v43, v42
	;; [unrolled: 1-line block ×6, first 2 shown]
	v_fma_f16 v41, v38, s2, -v41
	v_sub_f16_e32 v42, v23, v26
	v_add_f16_e32 v7, v41, v7
	v_add_f16_e32 v41, v22, v25
	v_mul_f16_e32 v43, 0xb482, v42
	s_mov_b32 s0, 0xbbad
	v_fma_f16 v44, v41, s0, v43
	v_add_f16_e32 v44, v44, v5
	v_fma_f16 v5, v41, s0, -v43
	v_add_f16_e32 v7, v5, v7
	v_pk_mul_f16 v5, v16, s7 op_sel_hi:[0,1]
	v_pk_fma_f16 v46, v15, s11, v5 op_sel_hi:[0,1,1]
	v_pk_fma_f16 v5, v15, s11, v5 op_sel_hi:[0,1,1] neg_lo:[0,0,1] neg_hi:[0,0,1]
	v_pk_mul_f16 v48, v20, s10 op_sel_hi:[0,1]
	v_pk_add_f16 v5, v9, v5 op_sel_hi:[0,1]
	v_pk_fma_f16 v49, v18, s17, v48 op_sel_hi:[0,1,1]
	v_pk_fma_f16 v48, v18, s17, v48 op_sel_hi:[0,1,1] neg_lo:[0,0,1] neg_hi:[0,0,1]
	v_add_f16_e32 v47, v9, v46
	v_add_f16_sdwa v46, v9, v46 dst_sel:DWORD dst_unused:UNUSED_PAD src0_sel:DWORD src1_sel:WORD_1
	v_pk_add_f16 v5, v48, v5
	v_pk_mul_f16 v48, v39, s16 op_sel_hi:[0,1]
	v_add_f16_e32 v47, v49, v47
	v_add_f16_sdwa v46, v49, v46 dst_sel:DWORD dst_unused:UNUSED_PAD src0_sel:WORD_1 src1_sel:DWORD
	v_pk_fma_f16 v49, v38, s19, v48 op_sel_hi:[0,1,1]
	v_pk_fma_f16 v48, v38, s19, v48 op_sel_hi:[0,1,1] neg_lo:[0,0,1] neg_hi:[0,0,1]
	v_pk_add_f16 v5, v48, v5
	v_pk_mul_f16 v48, v42, s18 op_sel_hi:[0,1]
	v_sub_f16_e32 v45, v13, v21
	v_add_f16_e32 v47, v49, v47
	v_add_f16_sdwa v46, v49, v46 dst_sel:DWORD dst_unused:UNUSED_PAD src0_sel:WORD_1 src1_sel:DWORD
	v_pk_fma_f16 v49, v41, s20, v48 op_sel_hi:[0,1,1]
	v_pk_fma_f16 v48, v41, s20, v48 op_sel_hi:[0,1,1] neg_lo:[0,0,1] neg_hi:[0,0,1]
	v_add_f16_e32 v43, v11, v14
	v_pk_add_f16 v5, v48, v5
	v_pk_mul_f16 v48, v45, s21 op_sel_hi:[0,1]
	v_add_f16_e32 v47, v49, v47
	v_add_f16_sdwa v46, v49, v46 dst_sel:DWORD dst_unused:UNUSED_PAD src0_sel:WORD_1 src1_sel:DWORD
	v_pk_fma_f16 v49, v43, s22, v48 op_sel_hi:[0,1,1]
	v_pk_fma_f16 v48, v43, s22, v48 op_sel_hi:[0,1,1] neg_lo:[0,0,1] neg_hi:[0,0,1]
	v_pk_add_f16 v5, v48, v5
	v_mul_f16_e32 v48, 0x3b47, v45
	s_movk_i32 s0, 0x36a6
	v_add_f16_e32 v47, v49, v47
	v_add_f16_sdwa v46, v49, v46 dst_sel:DWORD dst_unused:UNUSED_PAD src0_sel:WORD_1 src1_sel:DWORD
	v_fma_f16 v49, v43, s0, v48
	v_fma_f16 v48, v43, s0, -v48
	v_pk_mul_f16 v16, v16, s23 op_sel_hi:[0,1]
	v_add_f16_e32 v7, v48, v7
	v_pk_fma_f16 v48, v15, s25, v16 op_sel_hi:[0,1,1]
	v_pk_fma_f16 v15, v15, s25, v16 op_sel_hi:[0,1,1] neg_lo:[0,0,1] neg_hi:[0,0,1]
	v_add_f16_e32 v44, v49, v44
	v_add_f16_sdwa v49, v9, v48 dst_sel:DWORD dst_unused:UNUSED_PAD src0_sel:DWORD src1_sel:WORD_1
	v_add_f16_e32 v48, v9, v48
	v_pk_add_f16 v9, v9, v15 op_sel_hi:[0,1]
	v_pk_mul_f16 v15, v20, s24 op_sel_hi:[0,1]
	v_pk_fma_f16 v16, v18, s27, v15 op_sel_hi:[0,1,1]
	v_pk_fma_f16 v15, v18, s27, v15 op_sel_hi:[0,1,1] neg_lo:[0,0,1] neg_hi:[0,0,1]
	v_pk_add_f16 v9, v15, v9
	v_pk_mul_f16 v15, v39, s26 op_sel_hi:[0,1]
	v_pk_fma_f16 v18, v38, s29, v15 op_sel_hi:[0,1,1]
	v_pk_fma_f16 v15, v38, s29, v15 op_sel_hi:[0,1,1] neg_lo:[0,0,1] neg_hi:[0,0,1]
	v_add_f16_sdwa v20, v16, v49 dst_sel:DWORD dst_unused:UNUSED_PAD src0_sel:WORD_1 src1_sel:DWORD
	v_add_f16_e32 v16, v16, v48
	v_pk_add_f16 v9, v15, v9
	v_pk_mul_f16 v15, v42, s28 op_sel_hi:[0,1]
	v_add_f16_sdwa v20, v18, v20 dst_sel:DWORD dst_unused:UNUSED_PAD src0_sel:WORD_1 src1_sel:DWORD
	v_add_f16_e32 v16, v18, v16
	v_pk_fma_f16 v18, v41, s30, v15 op_sel_hi:[0,1,1]
	v_pk_fma_f16 v15, v41, s30, v15 op_sel_hi:[0,1,1] neg_lo:[0,0,1] neg_hi:[0,0,1]
	v_pk_add_f16 v9, v15, v9
	v_pk_mul_f16 v15, v45, s31 op_sel_hi:[0,1]
	v_add_f16_sdwa v20, v18, v20 dst_sel:DWORD dst_unused:UNUSED_PAD src0_sel:WORD_1 src1_sel:DWORD
	v_add_f16_e32 v16, v18, v16
	v_pk_fma_f16 v18, v43, s33, v15 op_sel_hi:[0,1,1]
	v_pk_fma_f16 v15, v43, s33, v15 op_sel_hi:[0,1,1] neg_lo:[0,0,1] neg_hi:[0,0,1]
	s_movk_i32 s0, 0x11e
	v_pk_add_f16 v9, v15, v9
	v_mad_u32_u24 v15, v17, s0, 0
	v_mov_b32_e32 v17, 1
	v_lshlrev_b32_sdwa v17, v17, v19 dst_sel:DWORD dst_unused:UNUSED_PAD src0_sel:DWORD src1_sel:BYTE_0
	v_add_f16_sdwa v20, v18, v20 dst_sel:DWORD dst_unused:UNUSED_PAD src0_sel:WORD_1 src1_sel:DWORD
	v_add_f16_e32 v16, v18, v16
	v_add3_u32 v38, v15, v17, v4
	ds_write_b16 v38, v40
	ds_write_b16 v38, v20 offset:26
	ds_write_b16 v38, v47 offset:52
	;; [unrolled: 1-line block ×7, first 2 shown]
	ds_write_b16_d16_hi v38, v5 offset:208
	ds_write_b16 v38, v5 offset:234
	ds_write_b16_d16_hi v38, v9 offset:260
	s_waitcnt lgkmcnt(0)
	s_barrier
	ds_read_u16 v15, v8
	ds_read_u16 v16, v6 offset:286
	ds_read_u16 v19, v6 offset:572
	;; [unrolled: 1-line block ×5, first 2 shown]
	s_movk_i32 s0, 0x41
	v_cmp_gt_u32_e64 s[0:1], s0, v3
	s_and_saveexec_b64 s[2:3], s[0:1]
	s_cbranch_execz .LBB0_16
; %bb.15:
	ds_read_u16 v4, v6 offset:1300
	ds_read_u16 v5, v6 offset:156
	;; [unrolled: 1-line block ×6, first 2 shown]
	s_mov_b32 s36, 0x5040100
	s_waitcnt lgkmcnt(4)
	v_perm_b32 v9, v4, v5, s36
	s_waitcnt lgkmcnt(1)
	v_perm_b32 v5, v39, v40, s36
.LBB0_16:
	s_or_b64 exec, exec, s[2:3]
	v_add_f16_e32 v4, v12, v34
	v_add_f16_e32 v4, v4, v32
	;; [unrolled: 1-line block ×11, first 2 shown]
	v_sub_f16_e32 v33, v33, v36
	v_mul_f16_e32 v4, 0xb93d, v34
	s_movk_i32 s2, 0x3a0c
	v_add_f16_e32 v32, v32, v35
	v_fma_f16 v36, v33, s2, v4
	v_fma_f16 v4, v33, s4, v4
	v_sub_f16_e32 v29, v31, v29
	v_mul_f16_e32 v31, 0xb08e, v32
	s_mov_b32 s2, 0xbbeb
	v_add_f16_e32 v28, v30, v28
	v_add_f16_e32 v4, v12, v4
	v_fma_f16 v35, v29, s2, v31
	v_fma_f16 v31, v29, s5, v31
	v_sub_f16_e32 v24, v24, v27
	v_mul_f16_e32 v27, 0x3abb, v28
	s_movk_i32 s2, 0x3853
	v_add_f16_e32 v23, v23, v26
	v_add_f16_e32 v4, v31, v4
	v_fma_f16 v30, v24, s2, v27
	v_fma_f16 v27, v24, s6, v27
	v_sub_f16_e32 v22, v22, v25
	v_mul_f16_e32 v25, 0xbbad, v23
	s_movk_i32 s2, 0x3482
	v_add_f16_e32 v36, v12, v36
	v_add_f16_e32 v4, v27, v4
	v_fma_f16 v26, v22, s2, v25
	v_fma_f16 v25, v22, s35, v25
	v_add_f16_e32 v35, v35, v36
	v_add_f16_e32 v25, v25, v4
	v_pk_mul_f16 v4, v34, s11 op_sel_hi:[0,1]
	v_add_f16_e32 v30, v30, v35
	v_sub_f16_e32 v14, v11, v14
	v_pk_fma_f16 v11, v33, s7, v4 op_sel_hi:[0,1,1] neg_lo:[1,0,0] neg_hi:[1,0,0]
	v_pk_fma_f16 v4, v33, s7, v4 op_sel_hi:[0,1,1]
	v_pk_mul_f16 v27, v32, s17 op_sel_hi:[0,1]
	v_add_f16_e32 v26, v26, v30
	v_pk_add_f16 v4, v12, v4 op_sel_hi:[0,1]
	v_pk_fma_f16 v30, v29, s10, v27 op_sel_hi:[0,1,1] neg_lo:[1,0,0] neg_hi:[1,0,0]
	v_pk_fma_f16 v27, v29, s10, v27 op_sel_hi:[0,1,1]
	v_add_f16_e32 v13, v13, v21
	v_add_f16_e32 v21, v12, v11
	v_add_f16_sdwa v11, v12, v11 dst_sel:DWORD dst_unused:UNUSED_PAD src0_sel:DWORD src1_sel:WORD_1
	v_pk_add_f16 v4, v27, v4
	v_pk_mul_f16 v27, v28, s19 op_sel_hi:[0,1]
	v_add_f16_e32 v21, v30, v21
	v_add_f16_sdwa v11, v30, v11 dst_sel:DWORD dst_unused:UNUSED_PAD src0_sel:WORD_1 src1_sel:DWORD
	v_pk_fma_f16 v30, v24, s16, v27 op_sel_hi:[0,1,1] neg_lo:[1,0,0] neg_hi:[1,0,0]
	v_pk_fma_f16 v27, v24, s16, v27 op_sel_hi:[0,1,1]
	v_pk_add_f16 v4, v27, v4
	v_pk_mul_f16 v27, v23, s20 op_sel_hi:[0,1]
	v_add_f16_e32 v21, v30, v21
	v_add_f16_sdwa v11, v30, v11 dst_sel:DWORD dst_unused:UNUSED_PAD src0_sel:WORD_1 src1_sel:DWORD
	v_pk_fma_f16 v30, v22, s18, v27 op_sel_hi:[0,1,1] neg_lo:[1,0,0] neg_hi:[1,0,0]
	v_pk_fma_f16 v27, v22, s18, v27 op_sel_hi:[0,1,1]
	v_pk_add_f16 v4, v27, v4
	v_pk_mul_f16 v27, v13, s22 op_sel_hi:[0,1]
	v_add_f16_e32 v21, v30, v21
	v_add_f16_sdwa v11, v30, v11 dst_sel:DWORD dst_unused:UNUSED_PAD src0_sel:WORD_1 src1_sel:DWORD
	v_pk_fma_f16 v30, v14, s21, v27 op_sel_hi:[0,1,1] neg_lo:[1,0,0] neg_hi:[1,0,0]
	v_add_f16_e32 v21, v30, v21
	v_pk_fma_f16 v27, v14, s21, v27 op_sel_hi:[0,1,1]
	v_add_f16_sdwa v30, v30, v11 dst_sel:DWORD dst_unused:UNUSED_PAD src0_sel:WORD_1 src1_sel:DWORD
	v_mul_f16_e32 v11, 0x36a6, v13
	s_mov_b32 s2, 0xbb47
	v_pk_add_f16 v4, v27, v4
	v_fma_f16 v27, v14, s2, v11
	v_fma_f16 v11, v14, s34, v11
	v_add_f16_e32 v11, v11, v25
	v_pk_mul_f16 v25, v34, s25 op_sel_hi:[0,1]
	v_add_f16_e32 v26, v27, v26
	v_pk_fma_f16 v27, v33, s23, v25 op_sel_hi:[0,1,1] neg_lo:[1,0,0] neg_hi:[1,0,0]
	v_pk_fma_f16 v25, v33, s23, v25 op_sel_hi:[0,1,1]
	v_add_f16_sdwa v31, v12, v27 dst_sel:DWORD dst_unused:UNUSED_PAD src0_sel:DWORD src1_sel:WORD_1
	v_add_f16_e32 v27, v12, v27
	v_pk_add_f16 v12, v12, v25 op_sel_hi:[0,1]
	v_pk_mul_f16 v25, v32, s27 op_sel_hi:[0,1]
	v_pk_fma_f16 v32, v29, s24, v25 op_sel_hi:[0,1,1] neg_lo:[1,0,0] neg_hi:[1,0,0]
	v_pk_fma_f16 v25, v29, s24, v25 op_sel_hi:[0,1,1]
	v_pk_add_f16 v12, v25, v12
	v_pk_mul_f16 v25, v28, s29 op_sel_hi:[0,1]
	v_add_f16_sdwa v31, v32, v31 dst_sel:DWORD dst_unused:UNUSED_PAD src0_sel:WORD_1 src1_sel:DWORD
	v_add_f16_e32 v27, v32, v27
	v_pk_fma_f16 v28, v24, s26, v25 op_sel_hi:[0,1,1] neg_lo:[1,0,0] neg_hi:[1,0,0]
	v_pk_fma_f16 v24, v24, s26, v25 op_sel_hi:[0,1,1]
	v_pk_mul_f16 v23, v23, s30 op_sel_hi:[0,1]
	v_add_f16_sdwa v29, v28, v31 dst_sel:DWORD dst_unused:UNUSED_PAD src0_sel:WORD_1 src1_sel:DWORD
	v_add_f16_e32 v27, v28, v27
	v_pk_add_f16 v12, v24, v12
	v_pk_fma_f16 v24, v22, s28, v23 op_sel_hi:[0,1,1] neg_lo:[1,0,0] neg_hi:[1,0,0]
	v_pk_fma_f16 v22, v22, s28, v23 op_sel_hi:[0,1,1]
	v_pk_mul_f16 v13, v13, s33 op_sel_hi:[0,1]
	v_add_f16_sdwa v25, v24, v29 dst_sel:DWORD dst_unused:UNUSED_PAD src0_sel:WORD_1 src1_sel:DWORD
	v_add_f16_e32 v24, v24, v27
	v_pk_add_f16 v12, v22, v12
	v_pk_fma_f16 v22, v14, s31, v13 op_sel_hi:[0,1,1] neg_lo:[1,0,0] neg_hi:[1,0,0]
	v_pk_fma_f16 v13, v14, s31, v13 op_sel_hi:[0,1,1]
	v_add_f16_e32 v14, v22, v24
	v_pk_add_f16 v12, v13, v12
	v_add_f16_sdwa v23, v22, v25 dst_sel:DWORD dst_unused:UNUSED_PAD src0_sel:WORD_1 src1_sel:DWORD
	s_waitcnt lgkmcnt(0)
	s_barrier
	ds_write_b16 v38, v39
	ds_write_b16 v38, v23 offset:26
	ds_write_b16 v38, v21 offset:52
	ds_write_b16 v38, v30 offset:78
	ds_write_b16 v38, v26 offset:104
	ds_write_b16 v38, v14 offset:130
	ds_write_b16 v38, v12 offset:156
	ds_write_b16 v38, v11 offset:182
	v_lshrrev_b32_e32 v13, 16, v4
	v_lshrrev_b32_e32 v14, 16, v12
	ds_write_b16 v38, v13 offset:208
	ds_write_b16 v38, v4 offset:234
	ds_write_b16 v38, v14 offset:260
	s_waitcnt lgkmcnt(0)
	s_barrier
	ds_read_u16 v21, v8
	ds_read_u16 v22, v6 offset:286
	ds_read_u16 v25, v6 offset:572
	;; [unrolled: 1-line block ×5, first 2 shown]
	v_lshrrev_b32_e32 v8, 16, v10
	s_and_saveexec_b64 s[2:3], s[0:1]
	s_cbranch_execz .LBB0_18
; %bb.17:
	ds_read_u16 v12, v6 offset:156
	ds_read_u16 v11, v6 offset:442
	;; [unrolled: 1-line block ×6, first 2 shown]
.LBB0_18:
	s_or_b64 exec, exec, s[2:3]
	s_and_saveexec_b64 s[2:3], vcc
	s_cbranch_execz .LBB0_21
; %bb.19:
	v_mul_u32_u24_e32 v6, 5, v3
	v_lshlrev_b32_e32 v6, 2, v6
	global_load_dwordx4 v[27:30], v6, s[8:9] offset:520
	global_load_dword v10, v6, s[8:9] offset:536
	v_mad_u64_u32 v[31:32], s[4:5], s12, v3, 0
	v_mov_b32_e32 v34, s15
	v_add_u32_e32 v35, 0x8f, v3
	v_mov_b32_e32 v6, v32
	v_mad_u64_u32 v[32:33], s[4:5], s13, v3, v[6:7]
	v_add_co_u32_e32 v0, vcc, s14, v0
	s_mov_b32 s2, 0xbaee
	s_movk_i32 s3, 0x3aee
	v_addc_co_u32_e32 v1, vcc, v34, v1, vcc
	v_mad_u64_u32 v[33:34], s[4:5], s12, v35, 0
	s_waitcnt vmcnt(1)
	v_lshrrev_b32_e32 v36, 16, v29
	v_mul_f16_sdwa v37, v19, v28 dst_sel:DWORD dst_unused:UNUSED_PAD src0_sel:DWORD src1_sel:WORD_1
	v_mul_f16_sdwa v38, v20, v30 dst_sel:DWORD dst_unused:UNUSED_PAD src0_sel:DWORD src1_sel:WORD_1
	s_waitcnt lgkmcnt(1)
	v_mul_f16_sdwa v40, v26, v30 dst_sel:DWORD dst_unused:UNUSED_PAD src0_sel:DWORD src1_sel:WORD_1
	v_mul_f16_e32 v42, v17, v29
	s_waitcnt vmcnt(0)
	v_lshrrev_b32_e32 v43, 16, v10
	v_mul_f16_e32 v44, v18, v10
	v_lshrrev_b32_e32 v6, 16, v27
	v_mul_f16_sdwa v39, v25, v28 dst_sel:DWORD dst_unused:UNUSED_PAD src0_sel:DWORD src1_sel:WORD_1
	v_mul_f16_e32 v41, v16, v27
	v_fma_f16 v25, v25, v28, -v37
	v_fma_f16 v26, v26, v30, -v38
	v_fma_f16 v20, v20, v30, v40
	v_fma_f16 v30, v23, v36, v42
	s_waitcnt lgkmcnt(0)
	v_fma_f16 v37, v24, v43, v44
	v_mul_f16_e32 v17, v17, v36
	v_mul_f16_e32 v18, v18, v43
	v_fma_f16 v19, v19, v28, v39
	v_fma_f16 v28, v22, v6, v41
	v_mul_f16_e32 v6, v16, v6
	v_add_f16_e32 v16, v25, v26
	v_add_f16_e32 v38, v30, v37
	v_fma_f16 v17, v23, v29, -v17
	v_fma_f16 v10, v24, v10, -v18
	v_sub_f16_e32 v36, v19, v20
	v_fma_f16 v6, v22, v27, -v6
	v_add_f16_e32 v22, v21, v25
	v_add_f16_e32 v23, v19, v20
	v_sub_f16_e32 v24, v25, v26
	v_add_f16_e32 v19, v15, v19
	v_add_f16_e32 v25, v28, v30
	v_fma_f16 v16, v16, -0.5, v21
	v_fma_f16 v21, v38, -0.5, v28
	v_add_f16_e32 v28, v17, v10
	v_sub_f16_e32 v18, v30, v37
	v_sub_f16_e32 v27, v17, v10
	v_add_f16_e32 v17, v6, v17
	v_fma_f16 v15, v23, -0.5, v15
	v_add_f16_e32 v19, v19, v20
	v_add_f16_e32 v20, v25, v37
	v_fma_f16 v6, v28, -0.5, v6
	v_add_f16_e32 v22, v22, v26
	v_add_f16_e32 v10, v17, v10
	v_fma_f16 v17, v24, s3, v15
	v_fma_f16 v15, v24, s2, v15
	v_sub_f16_e32 v24, v19, v20
	v_add_f16_e32 v19, v19, v20
	v_fma_f16 v20, v18, s2, v6
	v_fma_f16 v6, v18, s3, v6
	;; [unrolled: 1-line block ×4, first 2 shown]
	v_sub_f16_e32 v26, v22, v10
	v_add_f16_e32 v10, v22, v10
	v_mul_f16_e32 v18, -0.5, v20
	v_mul_f16_e32 v22, 0.5, v6
	v_mul_f16_e32 v20, 0xbaee, v20
	v_mul_f16_e32 v6, 0xbaee, v6
	v_fma_f16 v20, v25, -0.5, v20
	v_fma_f16 v6, v21, 0.5, v6
	v_fma_f16 v23, v36, s2, v16
	v_fma_f16 v18, v25, s3, v18
	v_sub_f16_e32 v27, v17, v20
	v_sub_f16_e32 v28, v15, v6
	v_add_f16_e32 v29, v17, v20
	v_add_f16_e32 v20, v15, v6
	v_mov_b32_e32 v6, v34
	v_fma_f16 v22, v21, s3, v22
	v_sub_f16_e32 v21, v23, v18
	v_add_f16_e32 v23, v23, v18
	v_mad_u64_u32 v[17:18], s[4:5], s13, v35, v[6:7]
	v_fma_f16 v16, v36, s3, v16
	v_pack_b32_f16 v6, v19, v10
	v_add_u32_e32 v10, 0x11e, v3
	v_sub_f16_e32 v25, v16, v22
	v_add_f16_e32 v22, v16, v22
	v_lshlrev_b64 v[15:16], 2, v[31:32]
	v_mov_b32_e32 v34, v17
	v_mad_u64_u32 v[17:18], s[4:5], s12, v10, 0
	v_add_co_u32_e32 v15, vcc, v0, v15
	v_addc_co_u32_e32 v16, vcc, v1, v16, vcc
	global_store_dword v[15:16], v6, off
	v_mov_b32_e32 v6, v18
	v_mad_u64_u32 v[18:19], s[4:5], s13, v10, v[6:7]
	v_add_u32_e32 v10, 0x1ad, v3
	v_pack_b32_f16 v22, v20, v22
	v_mad_u64_u32 v[19:20], s[4:5], s12, v10, 0
	v_lshlrev_b64 v[15:16], 2, v[33:34]
	v_add_co_u32_e32 v15, vcc, v0, v15
	v_addc_co_u32_e32 v16, vcc, v1, v16, vcc
	v_mov_b32_e32 v6, v20
	global_store_dword v[15:16], v22, off
	v_lshlrev_b64 v[15:16], 2, v[17:18]
	v_mad_u64_u32 v[17:18], s[4:5], s13, v10, v[6:7]
	v_add_u32_e32 v10, 0x23c, v3
	v_add_co_u32_e32 v15, vcc, v0, v15
	v_mov_b32_e32 v20, v17
	v_mad_u64_u32 v[17:18], s[4:5], s12, v10, 0
	v_addc_co_u32_e32 v16, vcc, v1, v16, vcc
	v_pack_b32_f16 v6, v29, v23
	global_store_dword v[15:16], v6, off
	v_mov_b32_e32 v6, v18
	v_lshlrev_b64 v[15:16], 2, v[19:20]
	v_mad_u64_u32 v[18:19], s[4:5], s13, v10, v[6:7]
	v_add_u32_e32 v10, 0x2cb, v3
	v_mad_u64_u32 v[19:20], s[4:5], s12, v10, 0
	v_add_co_u32_e32 v15, vcc, v0, v15
	v_addc_co_u32_e32 v16, vcc, v1, v16, vcc
	v_pack_b32_f16 v22, v24, v26
	v_mov_b32_e32 v6, v20
	global_store_dword v[15:16], v22, off
	v_lshlrev_b64 v[15:16], 2, v[17:18]
	v_mad_u64_u32 v[17:18], s[4:5], s13, v10, v[6:7]
	v_add_co_u32_e32 v15, vcc, v0, v15
	v_addc_co_u32_e32 v16, vcc, v1, v16, vcc
	v_pack_b32_f16 v6, v28, v25
	v_mov_b32_e32 v20, v17
	global_store_dword v[15:16], v6, off
	v_lshlrev_b64 v[15:16], 2, v[19:20]
	v_pack_b32_f16 v6, v27, v21
	v_add_co_u32_e32 v15, vcc, v0, v15
	v_addc_co_u32_e32 v16, vcc, v1, v16, vcc
	global_store_dword v[15:16], v6, off
	s_and_b64 exec, exec, s[0:1]
	s_cbranch_execz .LBB0_21
; %bb.20:
	v_add_u32_e32 v10, 0x4e, v3
	v_add_u32_e32 v6, 0xffffffbf, v3
	v_cndmask_b32_e64 v6, v6, v10, s[0:1]
	v_mul_i32_i24_e32 v15, 5, v6
	v_mov_b32_e32 v16, 0
	v_lshlrev_b64 v[15:16], 2, v[15:16]
	v_mov_b32_e32 v6, s9
	v_add_co_u32_e32 v19, vcc, s8, v15
	v_addc_co_u32_e32 v20, vcc, v6, v16, vcc
	global_load_dwordx4 v[15:18], v[19:20], off offset:520
	global_load_dword v25, v[19:20], off offset:536
	v_mad_u64_u32 v[19:20], s[0:1], s12, v10, 0
	v_add_u32_e32 v26, 0xdd, v3
	v_mad_u64_u32 v[21:22], s[0:1], s12, v26, 0
	v_mov_b32_e32 v6, v20
	v_mad_u64_u32 v[23:24], s[0:1], s13, v10, v[6:7]
	v_lshrrev_b32_e32 v10, 16, v5
	v_lshrrev_b32_e32 v24, 16, v9
	v_mov_b32_e32 v20, v23
	v_mov_b32_e32 v6, v22
	v_lshlrev_b64 v[19:20], 2, v[19:20]
	s_waitcnt vmcnt(1)
	v_mul_f16_sdwa v23, v7, v15 dst_sel:DWORD dst_unused:UNUSED_PAD src0_sel:DWORD src1_sel:WORD_1
	v_mul_f16_sdwa v30, v5, v17 dst_sel:DWORD dst_unused:UNUSED_PAD src0_sel:DWORD src1_sel:WORD_1
	s_waitcnt vmcnt(0)
	v_mul_f16_sdwa v34, v2, v25 dst_sel:DWORD dst_unused:UNUSED_PAD src0_sel:DWORD src1_sel:WORD_1
	v_mul_f16_sdwa v22, v11, v15 dst_sel:DWORD dst_unused:UNUSED_PAD src0_sel:DWORD src1_sel:WORD_1
	v_mul_f16_sdwa v27, v13, v16 dst_sel:DWORD dst_unused:UNUSED_PAD src0_sel:DWORD src1_sel:WORD_1
	v_mul_f16_sdwa v28, v10, v16 dst_sel:DWORD dst_unused:UNUSED_PAD src0_sel:DWORD src1_sel:WORD_1
	v_mul_f16_sdwa v29, v4, v17 dst_sel:DWORD dst_unused:UNUSED_PAD src0_sel:DWORD src1_sel:WORD_1
	v_mul_f16_sdwa v32, v24, v18 dst_sel:DWORD dst_unused:UNUSED_PAD src0_sel:DWORD src1_sel:WORD_1
	v_mul_f16_sdwa v33, v8, v25 dst_sel:DWORD dst_unused:UNUSED_PAD src0_sel:DWORD src1_sel:WORD_1
	v_fma_f16 v11, v11, v15, -v23
	v_fma_f16 v4, v4, v17, -v30
	;; [unrolled: 1-line block ×3, first 2 shown]
	v_mul_f16_sdwa v31, v14, v18 dst_sel:DWORD dst_unused:UNUSED_PAD src0_sel:DWORD src1_sel:WORD_1
	v_fma_f16 v7, v7, v15, v22
	v_fma_f16 v10, v10, v16, v27
	v_fma_f16 v13, v13, v16, -v28
	v_fma_f16 v5, v5, v17, v29
	v_fma_f16 v14, v14, v18, -v32
	v_fma_f16 v2, v2, v25, v33
	v_sub_f16_e32 v25, v4, v8
	v_add_f16_e32 v27, v11, v4
	v_add_f16_e32 v4, v4, v8
	v_fma_f16 v15, v24, v18, v31
	v_add_f16_e32 v16, v9, v10
	v_sub_f16_e32 v18, v13, v14
	v_add_f16_e32 v22, v12, v13
	v_add_f16_e32 v13, v13, v14
	;; [unrolled: 1-line block ×4, first 2 shown]
	v_sub_f16_e32 v5, v5, v2
	v_fma_f16 v4, v4, -0.5, v11
	v_add_f16_e32 v17, v10, v15
	v_sub_f16_e32 v10, v10, v15
	v_add_f16_e32 v15, v16, v15
	v_fma_f16 v12, v13, -0.5, v12
	v_fma_f16 v7, v24, -0.5, v7
	v_fma_f16 v16, v5, s3, v4
	v_fma_f16 v4, v5, s2, v4
	v_fma_f16 v9, v17, -0.5, v9
	v_fma_f16 v13, v10, s3, v12
	v_fma_f16 v10, v10, s2, v12
	;; [unrolled: 1-line block ×4, first 2 shown]
	v_mul_f16_e32 v5, 0xbaee, v4
	v_mul_f16_e32 v4, -0.5, v4
	v_add_f16_e32 v14, v22, v14
	v_add_f16_e32 v2, v23, v2
	;; [unrolled: 1-line block ×3, first 2 shown]
	v_fma_f16 v11, v18, s2, v9
	v_fma_f16 v9, v18, s3, v9
	v_fma_f16 v5, v7, -0.5, v5
	v_fma_f16 v4, v7, s3, v4
	v_add_f16_e32 v17, v15, v2
	v_add_f16_e32 v18, v14, v8
	v_sub_f16_e32 v15, v15, v2
	v_sub_f16_e32 v14, v14, v8
	v_mul_f16_e32 v2, 0xbaee, v16
	v_mul_f16_e32 v8, 0.5, v16
	v_add_f16_e32 v16, v9, v5
	v_add_f16_e32 v24, v10, v4
	v_sub_f16_e32 v25, v9, v5
	v_sub_f16_e32 v10, v10, v4
	v_mad_u64_u32 v[4:5], s[0:1], s13, v26, v[6:7]
	v_fma_f16 v2, v12, 0.5, v2
	v_fma_f16 v8, v12, s3, v8
	v_add_co_u32_e32 v5, vcc, v0, v19
	v_add_f16_e32 v12, v11, v2
	v_add_f16_e32 v23, v13, v8
	v_sub_f16_e32 v11, v11, v2
	v_sub_f16_e32 v13, v13, v8
	v_addc_co_u32_e32 v6, vcc, v1, v20, vcc
	v_pack_b32_f16 v2, v17, v18
	v_add_u32_e32 v8, 0x16c, v3
	global_store_dword v[5:6], v2, off
	v_mad_u64_u32 v[6:7], s[0:1], s12, v8, 0
	v_add_u32_e32 v17, 0x1fb, v3
	v_mov_b32_e32 v22, v4
	v_mov_b32_e32 v2, v7
	v_mad_u64_u32 v[7:8], s[0:1], s13, v8, v[2:3]
	v_mad_u64_u32 v[8:9], s[0:1], s12, v17, 0
	v_lshlrev_b64 v[4:5], 2, v[21:22]
	v_pack_b32_f16 v12, v12, v23
	v_add_co_u32_e32 v4, vcc, v0, v4
	v_addc_co_u32_e32 v5, vcc, v1, v5, vcc
	v_mov_b32_e32 v2, v9
	global_store_dword v[4:5], v12, off
	v_lshlrev_b64 v[4:5], 2, v[6:7]
	v_mad_u64_u32 v[6:7], s[0:1], s13, v17, v[2:3]
	v_add_co_u32_e32 v4, vcc, v0, v4
	v_addc_co_u32_e32 v5, vcc, v1, v5, vcc
	v_pack_b32_f16 v2, v16, v24
	v_mov_b32_e32 v9, v6
	global_store_dword v[4:5], v2, off
	v_lshlrev_b64 v[4:5], 2, v[8:9]
	v_add_u32_e32 v8, 0x28a, v3
	v_mad_u64_u32 v[6:7], s[0:1], s12, v8, 0
	v_add_co_u32_e32 v4, vcc, v0, v4
	v_mov_b32_e32 v2, v7
	v_mad_u64_u32 v[7:8], s[0:1], s13, v8, v[2:3]
	v_add_u32_e32 v8, 0x319, v3
	v_mad_u64_u32 v[2:3], s[0:1], s12, v8, 0
	v_addc_co_u32_e32 v5, vcc, v1, v5, vcc
	v_pack_b32_f16 v9, v15, v14
	global_store_dword v[4:5], v9, off
	v_lshlrev_b64 v[4:5], 2, v[6:7]
	v_mad_u64_u32 v[6:7], s[0:1], s13, v8, v[3:4]
	v_add_co_u32_e32 v3, vcc, v0, v4
	v_addc_co_u32_e32 v4, vcc, v1, v5, vcc
	v_pack_b32_f16 v5, v11, v13
	global_store_dword v[3:4], v5, off
	v_mov_b32_e32 v3, v6
	v_lshlrev_b64 v[2:3], 2, v[2:3]
	v_add_co_u32_e32 v0, vcc, v0, v2
	v_addc_co_u32_e32 v1, vcc, v1, v3, vcc
	v_pack_b32_f16 v2, v25, v10
	global_store_dword v[0:1], v2, off
.LBB0_21:
	s_endpgm
	.section	.rodata,"a",@progbits
	.p2align	6, 0x0
	.amdhsa_kernel fft_rtc_back_len858_factors_13_11_6_wgs_234_tpt_78_halfLds_half_ip_CI_sbrr_dirReg
		.amdhsa_group_segment_fixed_size 0
		.amdhsa_private_segment_fixed_size 0
		.amdhsa_kernarg_size 88
		.amdhsa_user_sgpr_count 6
		.amdhsa_user_sgpr_private_segment_buffer 1
		.amdhsa_user_sgpr_dispatch_ptr 0
		.amdhsa_user_sgpr_queue_ptr 0
		.amdhsa_user_sgpr_kernarg_segment_ptr 1
		.amdhsa_user_sgpr_dispatch_id 0
		.amdhsa_user_sgpr_flat_scratch_init 0
		.amdhsa_user_sgpr_private_segment_size 0
		.amdhsa_uses_dynamic_stack 0
		.amdhsa_system_sgpr_private_segment_wavefront_offset 0
		.amdhsa_system_sgpr_workgroup_id_x 1
		.amdhsa_system_sgpr_workgroup_id_y 0
		.amdhsa_system_sgpr_workgroup_id_z 0
		.amdhsa_system_sgpr_workgroup_info 0
		.amdhsa_system_vgpr_workitem_id 0
		.amdhsa_next_free_vgpr 69
		.amdhsa_next_free_sgpr 37
		.amdhsa_reserve_vcc 1
		.amdhsa_reserve_flat_scratch 0
		.amdhsa_float_round_mode_32 0
		.amdhsa_float_round_mode_16_64 0
		.amdhsa_float_denorm_mode_32 3
		.amdhsa_float_denorm_mode_16_64 3
		.amdhsa_dx10_clamp 1
		.amdhsa_ieee_mode 1
		.amdhsa_fp16_overflow 0
		.amdhsa_exception_fp_ieee_invalid_op 0
		.amdhsa_exception_fp_denorm_src 0
		.amdhsa_exception_fp_ieee_div_zero 0
		.amdhsa_exception_fp_ieee_overflow 0
		.amdhsa_exception_fp_ieee_underflow 0
		.amdhsa_exception_fp_ieee_inexact 0
		.amdhsa_exception_int_div_zero 0
	.end_amdhsa_kernel
	.text
.Lfunc_end0:
	.size	fft_rtc_back_len858_factors_13_11_6_wgs_234_tpt_78_halfLds_half_ip_CI_sbrr_dirReg, .Lfunc_end0-fft_rtc_back_len858_factors_13_11_6_wgs_234_tpt_78_halfLds_half_ip_CI_sbrr_dirReg
                                        ; -- End function
	.section	.AMDGPU.csdata,"",@progbits
; Kernel info:
; codeLenInByte = 9308
; NumSgprs: 41
; NumVgprs: 69
; ScratchSize: 0
; MemoryBound: 0
; FloatMode: 240
; IeeeMode: 1
; LDSByteSize: 0 bytes/workgroup (compile time only)
; SGPRBlocks: 5
; VGPRBlocks: 17
; NumSGPRsForWavesPerEU: 41
; NumVGPRsForWavesPerEU: 69
; Occupancy: 3
; WaveLimiterHint : 1
; COMPUTE_PGM_RSRC2:SCRATCH_EN: 0
; COMPUTE_PGM_RSRC2:USER_SGPR: 6
; COMPUTE_PGM_RSRC2:TRAP_HANDLER: 0
; COMPUTE_PGM_RSRC2:TGID_X_EN: 1
; COMPUTE_PGM_RSRC2:TGID_Y_EN: 0
; COMPUTE_PGM_RSRC2:TGID_Z_EN: 0
; COMPUTE_PGM_RSRC2:TIDIG_COMP_CNT: 0
	.type	__hip_cuid_16e6ccd87fa9c2f,@object ; @__hip_cuid_16e6ccd87fa9c2f
	.section	.bss,"aw",@nobits
	.globl	__hip_cuid_16e6ccd87fa9c2f
__hip_cuid_16e6ccd87fa9c2f:
	.byte	0                               ; 0x0
	.size	__hip_cuid_16e6ccd87fa9c2f, 1

	.ident	"AMD clang version 19.0.0git (https://github.com/RadeonOpenCompute/llvm-project roc-6.4.0 25133 c7fe45cf4b819c5991fe208aaa96edf142730f1d)"
	.section	".note.GNU-stack","",@progbits
	.addrsig
	.addrsig_sym __hip_cuid_16e6ccd87fa9c2f
	.amdgpu_metadata
---
amdhsa.kernels:
  - .args:
      - .actual_access:  read_only
        .address_space:  global
        .offset:         0
        .size:           8
        .value_kind:     global_buffer
      - .offset:         8
        .size:           8
        .value_kind:     by_value
      - .actual_access:  read_only
        .address_space:  global
        .offset:         16
        .size:           8
        .value_kind:     global_buffer
      - .actual_access:  read_only
        .address_space:  global
        .offset:         24
        .size:           8
        .value_kind:     global_buffer
      - .offset:         32
        .size:           8
        .value_kind:     by_value
      - .actual_access:  read_only
        .address_space:  global
        .offset:         40
        .size:           8
        .value_kind:     global_buffer
      - .actual_access:  read_only
        .address_space:  global
        .offset:         48
        .size:           8
        .value_kind:     global_buffer
      - .offset:         56
        .size:           4
        .value_kind:     by_value
      - .actual_access:  read_only
        .address_space:  global
        .offset:         64
        .size:           8
        .value_kind:     global_buffer
      - .actual_access:  read_only
        .address_space:  global
        .offset:         72
        .size:           8
        .value_kind:     global_buffer
      - .address_space:  global
        .offset:         80
        .size:           8
        .value_kind:     global_buffer
    .group_segment_fixed_size: 0
    .kernarg_segment_align: 8
    .kernarg_segment_size: 88
    .language:       OpenCL C
    .language_version:
      - 2
      - 0
    .max_flat_workgroup_size: 234
    .name:           fft_rtc_back_len858_factors_13_11_6_wgs_234_tpt_78_halfLds_half_ip_CI_sbrr_dirReg
    .private_segment_fixed_size: 0
    .sgpr_count:     41
    .sgpr_spill_count: 0
    .symbol:         fft_rtc_back_len858_factors_13_11_6_wgs_234_tpt_78_halfLds_half_ip_CI_sbrr_dirReg.kd
    .uniform_work_group_size: 1
    .uses_dynamic_stack: false
    .vgpr_count:     69
    .vgpr_spill_count: 0
    .wavefront_size: 64
amdhsa.target:   amdgcn-amd-amdhsa--gfx906
amdhsa.version:
  - 1
  - 2
...

	.end_amdgpu_metadata
